;; amdgpu-corpus repo=ROCm/rocFFT kind=compiled arch=gfx1030 opt=O3
	.text
	.amdgcn_target "amdgcn-amd-amdhsa--gfx1030"
	.amdhsa_code_object_version 6
	.protected	fft_rtc_fwd_len80_factors_10_8_wgs_160_tpt_10_dp_ip_CI_sbcc_twdbase6_3step ; -- Begin function fft_rtc_fwd_len80_factors_10_8_wgs_160_tpt_10_dp_ip_CI_sbcc_twdbase6_3step
	.globl	fft_rtc_fwd_len80_factors_10_8_wgs_160_tpt_10_dp_ip_CI_sbcc_twdbase6_3step
	.p2align	8
	.type	fft_rtc_fwd_len80_factors_10_8_wgs_160_tpt_10_dp_ip_CI_sbcc_twdbase6_3step,@function
fft_rtc_fwd_len80_factors_10_8_wgs_160_tpt_10_dp_ip_CI_sbcc_twdbase6_3step: ; @fft_rtc_fwd_len80_factors_10_8_wgs_160_tpt_10_dp_ip_CI_sbcc_twdbase6_3step
; %bb.0:
	s_clause 0x2
	s_load_dwordx2 s[16:17], s[4:5], 0x58
	s_load_dwordx2 s[18:19], s[4:5], 0x0
	s_load_dwordx8 s[8:15], s[4:5], 0x8
	s_mov_b32 s1, exec_lo
	v_cmpx_gt_u32_e32 0xc0, v0
	s_cbranch_execz .LBB0_3
; %bb.1:
	v_lshlrev_b32_e32 v5, 4, v0
	v_add_co_u32 v1, s0, 0xffffff60, v0
	v_add_co_ci_u32_e64 v2, null, 0, -1, s0
	s_waitcnt lgkmcnt(0)
	v_add_co_u32 v3, s0, s8, v5
	v_add_co_ci_u32_e64 v4, null, s9, 0, s0
	v_add3_u32 v5, v5, 0, 0x5000
	s_mov_b32 s2, 0
	.p2align	6
.LBB0_2:                                ; =>This Inner Loop Header: Depth=1
	global_load_dwordx4 v[6:9], v[3:4], off
	v_add_co_u32 v1, vcc_lo, 0xa0, v1
	v_add_co_ci_u32_e32 v2, vcc_lo, 0, v2, vcc_lo
	v_add_co_u32 v3, vcc_lo, 0xa00, v3
	v_add_co_ci_u32_e32 v4, vcc_lo, 0, v4, vcc_lo
	v_cmp_lt_u64_e64 s0, 31, v[1:2]
	s_or_b32 s2, s0, s2
	s_waitcnt vmcnt(0)
	ds_write2_b64 v5, v[6:7], v[8:9] offset1:1
	v_add_nc_u32_e32 v5, 0xa00, v5
	s_andn2_b32 exec_lo, exec_lo, s2
	s_cbranch_execnz .LBB0_2
.LBB0_3:
	s_or_b32 exec_lo, exec_lo, s1
	s_waitcnt lgkmcnt(0)
	s_load_dwordx2 s[8:9], s[12:13], 0x8
	s_mov_b32 s7, 0
	s_mov_b64 s[22:23], 0
	s_waitcnt lgkmcnt(0)
	s_add_u32 s0, s8, -1
	s_addc_u32 s1, s9, -1
	s_lshr_b64 s[0:1], s[0:1], 4
	s_add_u32 s20, s0, 1
	s_addc_u32 s21, s1, 0
	v_cmp_lt_u64_e64 s0, s[6:7], s[20:21]
	s_and_b32 vcc_lo, exec_lo, s0
	s_cbranch_vccnz .LBB0_5
; %bb.4:
	v_cvt_f32_u32_e32 v1, s20
	s_sub_i32 s1, 0, s20
	s_mov_b32 s23, s7
	v_rcp_iflag_f32_e32 v1, v1
	v_mul_f32_e32 v1, 0x4f7ffffe, v1
	v_cvt_u32_f32_e32 v1, v1
	v_readfirstlane_b32 s0, v1
	s_mul_i32 s1, s1, s0
	s_mul_hi_u32 s1, s0, s1
	s_add_i32 s0, s0, s1
	s_mul_hi_u32 s0, s6, s0
	s_mul_i32 s1, s0, s20
	s_add_i32 s2, s0, 1
	s_sub_i32 s1, s6, s1
	s_sub_i32 s3, s1, s20
	s_cmp_ge_u32 s1, s20
	s_cselect_b32 s0, s2, s0
	s_cselect_b32 s1, s3, s1
	s_add_i32 s2, s0, 1
	s_cmp_ge_u32 s1, s20
	s_cselect_b32 s22, s2, s0
.LBB0_5:
	s_load_dwordx4 s[0:3], s[14:15], 0x0
	s_mul_i32 s4, s22, s21
	s_mul_hi_u32 s5, s22, s20
	s_mul_i32 s24, s22, s20
	s_add_i32 s5, s5, s4
	s_sub_u32 s4, s6, s24
	s_subb_u32 s5, 0, s5
	v_cmp_lt_u64_e64 s25, s[10:11], 3
	v_alignbit_b32 v1, s5, s4, 28
	s_lshl_b64 s[4:5], s[4:5], 4
	s_and_b32 vcc_lo, exec_lo, s25
	s_waitcnt lgkmcnt(0)
	v_mul_lo_u32 v1, s2, v1
	s_mul_hi_u32 s24, s2, s4
	s_mul_i32 s26, s3, s4
	v_add_nc_u32_e32 v2, s24, v1
	s_mul_i32 s24, s2, s4
	v_mov_b32_e32 v1, s24
	v_add_nc_u32_e32 v2, s26, v2
	s_cbranch_vccnz .LBB0_14
; %bb.6:
	s_add_u32 s24, s14, 16
	s_addc_u32 s25, s15, 0
	s_add_u32 s12, s12, 16
	s_addc_u32 s13, s13, 0
	s_mov_b64 s[26:27], 2
	s_mov_b32 s28, 0
	s_branch .LBB0_8
.LBB0_7:                                ;   in Loop: Header=BB0_8 Depth=1
	s_load_dwordx2 s[36:37], s[24:25], 0x0
	s_mul_i32 s21, s30, s21
	s_mul_hi_u32 s29, s30, s20
	s_mul_i32 s33, s31, s20
	s_mul_i32 s31, s34, s31
	s_mul_hi_u32 s38, s34, s30
	s_mul_i32 s39, s35, s30
	s_add_i32 s21, s29, s21
	s_add_i32 s29, s38, s31
	s_mul_i32 s40, s34, s30
	s_add_i32 s21, s21, s33
	s_add_i32 s29, s29, s39
	s_sub_u32 s22, s22, s40
	s_subb_u32 s23, s23, s29
	s_mul_i32 s20, s30, s20
	s_waitcnt lgkmcnt(0)
	s_mul_i32 s23, s36, s23
	s_mul_hi_u32 s29, s36, s22
	s_mul_i32 s31, s37, s22
	s_add_i32 s23, s29, s23
	s_mul_i32 s22, s36, s22
	s_add_i32 s23, s23, s31
	s_add_u32 s26, s26, 1
	s_addc_u32 s27, s27, 0
	v_add_co_u32 v1, vcc_lo, s22, v1
	v_cmp_ge_u64_e64 s29, s[26:27], s[10:11]
	v_add_co_ci_u32_e32 v2, vcc_lo, s23, v2, vcc_lo
	s_add_u32 s24, s24, 8
	s_addc_u32 s25, s25, 0
	s_add_u32 s12, s12, 8
	s_addc_u32 s13, s13, 0
	s_and_b32 vcc_lo, exec_lo, s29
	s_mov_b64 s[22:23], s[34:35]
	s_cbranch_vccnz .LBB0_12
.LBB0_8:                                ; =>This Inner Loop Header: Depth=1
	s_load_dwordx2 s[30:31], s[12:13], 0x0
	s_waitcnt lgkmcnt(0)
	s_or_b64 s[34:35], s[22:23], s[30:31]
	s_mov_b32 s29, s35
                                        ; implicit-def: $sgpr34_sgpr35
	s_cmp_lg_u64 s[28:29], 0
	s_mov_b32 s29, -1
	s_cbranch_scc0 .LBB0_10
; %bb.9:                                ;   in Loop: Header=BB0_8 Depth=1
	v_cvt_f32_u32_e32 v3, s30
	v_cvt_f32_u32_e32 v4, s31
	s_sub_u32 s34, 0, s30
	s_subb_u32 s35, 0, s31
	v_fmac_f32_e32 v3, 0x4f800000, v4
	v_rcp_f32_e32 v3, v3
	v_mul_f32_e32 v3, 0x5f7ffffc, v3
	v_mul_f32_e32 v4, 0x2f800000, v3
	v_trunc_f32_e32 v4, v4
	v_fmac_f32_e32 v3, 0xcf800000, v4
	v_cvt_u32_f32_e32 v4, v4
	v_cvt_u32_f32_e32 v3, v3
	v_readfirstlane_b32 s29, v4
	v_readfirstlane_b32 s33, v3
	s_mul_i32 s36, s34, s29
	s_mul_hi_u32 s38, s34, s33
	s_mul_i32 s37, s35, s33
	s_add_i32 s36, s38, s36
	s_mul_i32 s39, s34, s33
	s_add_i32 s36, s36, s37
	s_mul_hi_u32 s38, s33, s39
	s_mul_hi_u32 s40, s29, s39
	s_mul_i32 s37, s29, s39
	s_mul_hi_u32 s39, s33, s36
	s_mul_i32 s33, s33, s36
	s_mul_hi_u32 s41, s29, s36
	s_add_u32 s33, s38, s33
	s_addc_u32 s38, 0, s39
	s_add_u32 s33, s33, s37
	s_mul_i32 s36, s29, s36
	s_addc_u32 s33, s38, s40
	s_addc_u32 s37, s41, 0
	s_add_u32 s33, s33, s36
	s_addc_u32 s36, 0, s37
	v_add_co_u32 v3, s33, v3, s33
	s_cmp_lg_u32 s33, 0
	s_addc_u32 s29, s29, s36
	v_readfirstlane_b32 s33, v3
	s_mul_i32 s36, s34, s29
	s_mul_hi_u32 s37, s34, s33
	s_mul_i32 s35, s35, s33
	s_add_i32 s36, s37, s36
	s_mul_i32 s34, s34, s33
	s_add_i32 s36, s36, s35
	s_mul_hi_u32 s37, s29, s34
	s_mul_i32 s38, s29, s34
	s_mul_hi_u32 s34, s33, s34
	s_mul_hi_u32 s39, s33, s36
	s_mul_i32 s33, s33, s36
	s_mul_hi_u32 s35, s29, s36
	s_add_u32 s33, s34, s33
	s_addc_u32 s34, 0, s39
	s_add_u32 s33, s33, s38
	s_mul_i32 s36, s29, s36
	s_addc_u32 s33, s34, s37
	s_addc_u32 s34, s35, 0
	s_add_u32 s33, s33, s36
	s_addc_u32 s34, 0, s34
	v_add_co_u32 v3, s33, v3, s33
	s_cmp_lg_u32 s33, 0
	s_addc_u32 s29, s29, s34
	v_readfirstlane_b32 s33, v3
	s_mul_i32 s35, s22, s29
	s_mul_hi_u32 s34, s22, s29
	s_mul_hi_u32 s36, s23, s29
	s_mul_i32 s29, s23, s29
	s_mul_hi_u32 s37, s22, s33
	s_mul_hi_u32 s38, s23, s33
	s_mul_i32 s33, s23, s33
	s_add_u32 s35, s37, s35
	s_addc_u32 s34, 0, s34
	s_add_u32 s33, s35, s33
	s_addc_u32 s33, s34, s38
	s_addc_u32 s34, s36, 0
	s_add_u32 s33, s33, s29
	s_addc_u32 s34, 0, s34
	s_mul_hi_u32 s29, s30, s33
	s_mul_i32 s36, s30, s34
	s_mul_i32 s37, s30, s33
	s_add_i32 s29, s29, s36
	v_sub_co_u32 v3, s36, s22, s37
	s_mul_i32 s35, s31, s33
	s_add_i32 s29, s29, s35
	v_sub_co_u32 v4, s37, v3, s30
	s_sub_i32 s35, s23, s29
	s_cmp_lg_u32 s36, 0
	s_subb_u32 s35, s35, s31
	s_cmp_lg_u32 s37, 0
	v_readfirstlane_b32 s37, v4
	s_subb_u32 s35, s35, 0
	s_cmp_ge_u32 s35, s31
	s_cselect_b32 s38, -1, 0
	s_cmp_ge_u32 s37, s30
	s_cselect_b32 s37, -1, 0
	s_cmp_eq_u32 s35, s31
	s_cselect_b32 s35, s37, s38
	s_add_u32 s37, s33, 1
	s_addc_u32 s38, s34, 0
	s_add_u32 s39, s33, 2
	s_addc_u32 s40, s34, 0
	s_cmp_lg_u32 s35, 0
	s_cselect_b32 s37, s39, s37
	s_cselect_b32 s35, s40, s38
	s_cmp_lg_u32 s36, 0
	v_readfirstlane_b32 s36, v3
	s_subb_u32 s29, s23, s29
	s_cmp_ge_u32 s29, s31
	s_cselect_b32 s38, -1, 0
	s_cmp_ge_u32 s36, s30
	s_cselect_b32 s36, -1, 0
	s_cmp_eq_u32 s29, s31
	s_cselect_b32 s29, s36, s38
	s_cmp_lg_u32 s29, 0
	s_mov_b32 s29, 0
	s_cselect_b32 s35, s35, s34
	s_cselect_b32 s34, s37, s33
.LBB0_10:                               ;   in Loop: Header=BB0_8 Depth=1
	s_andn2_b32 vcc_lo, exec_lo, s29
	s_cbranch_vccnz .LBB0_7
; %bb.11:                               ;   in Loop: Header=BB0_8 Depth=1
	v_cvt_f32_u32_e32 v3, s30
	s_sub_i32 s33, 0, s30
	v_rcp_iflag_f32_e32 v3, v3
	v_mul_f32_e32 v3, 0x4f7ffffe, v3
	v_cvt_u32_f32_e32 v3, v3
	v_readfirstlane_b32 s29, v3
	s_mul_i32 s33, s33, s29
	s_mul_hi_u32 s33, s29, s33
	s_add_i32 s29, s29, s33
	s_mul_hi_u32 s29, s22, s29
	s_mul_i32 s33, s29, s30
	s_add_i32 s34, s29, 1
	s_sub_i32 s33, s22, s33
	s_sub_i32 s35, s33, s30
	s_cmp_ge_u32 s33, s30
	s_cselect_b32 s29, s34, s29
	s_cselect_b32 s33, s35, s33
	s_add_i32 s34, s29, 1
	s_cmp_ge_u32 s33, s30
	s_mov_b32 s35, s28
	s_cselect_b32 s34, s34, s29
	s_branch .LBB0_7
.LBB0_12:
	v_cmp_lt_u64_e64 s7, s[6:7], s[20:21]
	s_mov_b64 s[22:23], 0
	s_and_b32 vcc_lo, exec_lo, s7
	s_cbranch_vccnz .LBB0_14
; %bb.13:
	v_cvt_f32_u32_e32 v3, s20
	s_sub_i32 s12, 0, s20
	v_rcp_iflag_f32_e32 v3, v3
	v_mul_f32_e32 v3, 0x4f7ffffe, v3
	v_cvt_u32_f32_e32 v3, v3
	v_readfirstlane_b32 s7, v3
	s_mul_i32 s12, s12, s7
	s_mul_hi_u32 s12, s7, s12
	s_add_i32 s7, s7, s12
	s_mul_hi_u32 s7, s6, s7
	s_mul_i32 s12, s7, s20
	s_sub_i32 s6, s6, s12
	s_add_i32 s12, s7, 1
	s_sub_i32 s13, s6, s20
	s_cmp_ge_u32 s6, s20
	s_cselect_b32 s7, s12, s7
	s_cselect_b32 s6, s13, s6
	s_add_i32 s12, s7, 1
	s_cmp_ge_u32 s6, s20
	s_cselect_b32 s22, s12, s7
.LBB0_14:
	s_lshl_b64 s[6:7], s[10:11], 3
	v_and_b32_e32 v70, 15, v0
	s_add_u32 s6, s14, s6
	s_addc_u32 s7, s15, s7
	v_mov_b32_e32 v4, s5
	s_load_dwordx2 s[6:7], s[6:7], 0x0
	v_or_b32_e32 v3, s4, v70
	v_lshrrev_b32_e32 v67, 4, v0
	v_mul_u32_u24_e32 v71, 0x500, v70
	v_lshlrev_b32_e32 v72, 4, v67
	v_add_nc_u32_e32 v68, 10, v67
	v_add_nc_u32_e32 v69, 20, v67
	;; [unrolled: 1-line block ×7, first 2 shown]
	s_waitcnt lgkmcnt(0)
	s_mul_i32 s7, s7, s22
	s_mul_hi_u32 s10, s6, s22
	s_mul_i32 s6, s6, s22
	s_add_i32 s10, s10, s7
	v_add_co_u32 v1, vcc_lo, s6, v1
	v_add_co_ci_u32_e32 v2, vcc_lo, s10, v2, vcc_lo
	s_add_u32 s6, s4, 16
	s_addc_u32 s7, s5, 0
	v_cmp_gt_u64_e32 vcc_lo, s[8:9], v[3:4]
	v_cmp_le_u64_e64 s5, s[6:7], s[8:9]
	v_lshlrev_b64 v[60:61], 4, v[1:2]
	s_or_b32 s20, s5, vcc_lo
	s_and_saveexec_b32 s5, s20
	s_cbranch_execz .LBB0_16
; %bb.15:
	v_mad_u64_u32 v[1:2], null, s2, v70, 0
	v_mad_u64_u32 v[3:4], null, s0, v67, 0
	v_mad_u64_u32 v[5:6], null, s0, v68, 0
	v_mad_u64_u32 v[9:10], null, s0, v69, 0
	v_add3_u32 v33, 0, v71, v72
	v_mad_u64_u32 v[7:8], null, s3, v70, v[2:3]
	v_mov_b32_e32 v2, v6
	v_mad_u64_u32 v[11:12], null, s1, v67, v[4:5]
	v_add_co_u32 v8, vcc_lo, s16, v60
	v_mad_u64_u32 v[12:13], null, s1, v68, v[2:3]
	v_mov_b32_e32 v2, v7
	v_add_co_ci_u32_e32 v15, vcc_lo, s17, v61, vcc_lo
	v_mov_b32_e32 v4, v11
	v_mad_u64_u32 v[13:14], null, s0, v66, 0
	v_lshlrev_b64 v[1:2], 4, v[1:2]
	v_mov_b32_e32 v6, v12
	v_lshlrev_b64 v[3:4], 4, v[3:4]
	v_mov_b32_e32 v7, v10
	v_mad_u64_u32 v[11:12], null, s0, v65, 0
	v_add_co_u32 v29, vcc_lo, v8, v1
	v_add_co_ci_u32_e32 v30, vcc_lo, v15, v2, vcc_lo
	v_lshlrev_b64 v[1:2], 4, v[5:6]
	v_add_co_u32 v3, vcc_lo, v29, v3
	v_add_co_ci_u32_e32 v4, vcc_lo, v30, v4, vcc_lo
	v_mad_u64_u32 v[5:6], null, s1, v69, v[7:8]
	v_mov_b32_e32 v6, v14
	v_add_co_u32 v7, vcc_lo, v29, v1
	v_mad_u64_u32 v[17:18], null, s1, v65, v[12:13]
	v_mad_u64_u32 v[18:19], null, s0, v64, 0
	;; [unrolled: 1-line block ×4, first 2 shown]
	v_mov_b32_e32 v10, v5
	v_mov_b32_e32 v12, v17
	v_add_co_ci_u32_e32 v8, vcc_lo, v30, v2, vcc_lo
	v_lshlrev_b64 v[13:14], 4, v[13:14]
	v_lshlrev_b64 v[9:10], 4, v[9:10]
	v_mad_u64_u32 v[20:21], null, s1, v62, v[16:17]
	v_mad_u64_u32 v[21:22], null, s0, v63, 0
	v_lshlrev_b64 v[11:12], 4, v[11:12]
	v_add_co_u32 v9, vcc_lo, v29, v9
	v_add_co_ci_u32_e32 v10, vcc_lo, v30, v10, vcc_lo
	v_mov_b32_e32 v16, v20
	v_mov_b32_e32 v17, v22
	v_mad_u64_u32 v[19:20], null, s1, v64, v[19:20]
	v_add_co_u32 v13, vcc_lo, v29, v13
	v_mad_u64_u32 v[22:23], null, s1, v63, v[17:18]
	v_lshlrev_b64 v[15:16], 4, v[15:16]
	v_add_co_ci_u32_e32 v14, vcc_lo, v30, v14, vcc_lo
	v_add_co_u32 v23, vcc_lo, v29, v11
	v_add_co_ci_u32_e32 v24, vcc_lo, v30, v12, vcc_lo
	v_lshlrev_b64 v[11:12], 4, v[18:19]
	v_add_co_u32 v25, vcc_lo, v29, v15
	v_add_co_ci_u32_e32 v26, vcc_lo, v30, v16, vcc_lo
	v_lshlrev_b64 v[15:16], 4, v[21:22]
	v_add_co_u32 v27, vcc_lo, v29, v11
	v_add_co_ci_u32_e32 v28, vcc_lo, v30, v12, vcc_lo
	s_clause 0x1
	global_load_dwordx4 v[1:4], v[3:4], off
	global_load_dwordx4 v[5:8], v[7:8], off
	v_add_co_u32 v29, vcc_lo, v29, v15
	v_add_co_ci_u32_e32 v30, vcc_lo, v30, v16, vcc_lo
	s_clause 0x5
	global_load_dwordx4 v[9:12], v[9:10], off
	global_load_dwordx4 v[13:16], v[13:14], off
	;; [unrolled: 1-line block ×6, first 2 shown]
	s_waitcnt vmcnt(7)
	ds_write_b128 v33, v[1:4]
	s_waitcnt vmcnt(6)
	ds_write_b128 v33, v[5:8] offset:160
	s_waitcnt vmcnt(5)
	ds_write_b128 v33, v[9:12] offset:320
	;; [unrolled: 2-line block ×7, first 2 shown]
.LBB0_16:
	s_or_b32 exec_lo, exec_lo, s5
	v_mul_hi_u32 v42, 0x1999999a, v0
	s_waitcnt lgkmcnt(0)
	s_barrier
	buffer_gl0_inv
	s_mov_b32 s5, exec_lo
	v_mul_u32_u24_e32 v1, 10, v42
	v_and_b32_e32 v2, 15, v42
	v_sub_nc_u32_e32 v40, v0, v1
	v_mul_u32_u24_e32 v0, 0x50, v2
	v_lshlrev_b32_e32 v1, 4, v40
	v_lshlrev_b32_e32 v43, 4, v0
	v_add_nc_u32_e32 v44, 0, v1
	v_add3_u32 v41, 0, v43, v1
	v_add_nc_u32_e32 v73, v44, v43
	ds_read_b128 v[24:27], v41
	ds_read_b128 v[28:31], v73 offset:128
	ds_read_b128 v[36:39], v73 offset:256
	ds_read_b128 v[32:35], v73 offset:384
	ds_read_b128 v[20:23], v73 offset:512
	ds_read_b128 v[16:19], v73 offset:640
	ds_read_b128 v[12:15], v73 offset:768
	ds_read_b128 v[8:11], v73 offset:896
	ds_read_b128 v[4:7], v73 offset:1024
	ds_read_b128 v[0:3], v73 offset:1152
	s_waitcnt lgkmcnt(0)
	s_barrier
	buffer_gl0_inv
	v_cmpx_gt_u32_e32 8, v40
	s_cbranch_execz .LBB0_18
; %bb.17:
	v_add_f64 v[45:46], v[18:19], v[10:11]
	v_add_f64 v[51:52], v[16:17], v[8:9]
	;; [unrolled: 1-line block ×4, first 2 shown]
	v_add_f64 v[92:93], v[34:35], -v[2:3]
	v_add_f64 v[94:95], v[32:33], -v[0:1]
	;; [unrolled: 1-line block ×4, first 2 shown]
	s_mov_b32 s6, 0x134454ff
	s_mov_b32 s7, 0x3fee6f0e
	;; [unrolled: 1-line block ×4, first 2 shown]
	v_add_f64 v[53:54], v[22:23], v[14:15]
	v_add_f64 v[55:56], v[38:39], v[6:7]
	;; [unrolled: 1-line block ×4, first 2 shown]
	v_add_f64 v[108:109], v[32:33], -v[16:17]
	v_add_f64 v[110:111], v[34:35], -v[18:19]
	;; [unrolled: 1-line block ×6, first 2 shown]
	v_fma_f64 v[45:46], v[45:46], -0.5, v[30:31]
	v_fma_f64 v[51:52], v[51:52], -0.5, v[28:29]
	;; [unrolled: 1-line block ×4, first 2 shown]
	v_add_f64 v[120:121], v[8:9], -v[0:1]
	v_add_f64 v[122:123], v[10:11], -v[2:3]
	v_add_f64 v[28:29], v[28:29], v[32:33]
	v_add_f64 v[30:31], v[30:31], v[34:35]
	s_mov_b32 s10, 0x4755a5e
	v_add_f64 v[76:77], v[26:27], v[38:39]
	v_add_f64 v[78:79], v[24:25], v[36:37]
	s_mov_b32 s11, 0x3fe2cf23
	s_mov_b32 s13, 0xbfe2cf23
	;; [unrolled: 1-line block ×3, first 2 shown]
	v_add_f64 v[80:81], v[38:39], -v[22:23]
	v_add_f64 v[82:83], v[36:37], -v[4:5]
	;; [unrolled: 1-line block ×8, first 2 shown]
	v_fma_f64 v[124:125], v[94:95], s[6:7], v[45:46]
	v_fma_f64 v[130:131], v[92:93], s[6:7], v[51:52]
	;; [unrolled: 1-line block ×7, first 2 shown]
	v_fma_f64 v[49:50], v[53:54], -0.5, v[26:27]
	v_fma_f64 v[26:27], v[55:56], -0.5, v[26:27]
	;; [unrolled: 1-line block ×3, first 2 shown]
	v_add_f64 v[53:54], v[108:109], v[116:117]
	v_add_f64 v[55:56], v[110:111], v[118:119]
	v_fma_f64 v[45:46], v[94:95], s[8:9], v[45:46]
	v_fma_f64 v[24:25], v[74:75], -0.5, v[24:25]
	v_add_f64 v[57:58], v[112:113], v[120:121]
	v_add_f64 v[108:109], v[114:115], v[122:123]
	s_mov_b32 s14, 0x372fe950
	v_add_f64 v[86:87], v[36:37], -v[20:21]
	v_add_f64 v[36:37], v[20:21], -v[36:37]
	s_mov_b32 s15, 0x3fd3c6ef
	v_add_f64 v[22:23], v[76:77], v[22:23]
	v_add_f64 v[20:21], v[78:79], v[20:21]
	v_fma_f64 v[110:111], v[90:91], s[10:11], v[124:125]
	v_fma_f64 v[116:117], v[88:89], s[10:11], v[130:131]
	;; [unrolled: 1-line block ×7, first 2 shown]
	v_add_f64 v[18:19], v[30:31], v[18:19]
	v_add_f64 v[16:17], v[28:29], v[16:17]
	v_add_f64 v[104:105], v[4:5], -v[12:13]
	v_fma_f64 v[74:75], v[96:97], s[8:9], v[26:27]
	v_fma_f64 v[76:77], v[82:83], s[6:7], v[49:50]
	;; [unrolled: 1-line block ×9, first 2 shown]
	v_add_f64 v[106:107], v[12:13], -v[4:5]
	v_add_f64 v[28:29], v[80:81], v[100:101]
	v_add_f64 v[30:31], v[84:85], v[102:103]
	v_fma_f64 v[78:79], v[55:56], s[14:15], v[110:111]
	v_fma_f64 v[88:89], v[53:54], s[14:15], v[116:117]
	;; [unrolled: 1-line block ×7, first 2 shown]
	s_mov_b32 s22, 0x9b97f4a8
	s_mov_b32 s23, 0x3fe9e377
	v_add_f64 v[14:15], v[22:23], v[14:15]
	v_add_f64 v[12:13], v[20:21], v[12:13]
	;; [unrolled: 1-line block ×5, first 2 shown]
	v_fma_f64 v[16:17], v[82:83], s[10:11], v[74:75]
	v_fma_f64 v[18:19], v[96:97], s[10:11], v[76:77]
	;; [unrolled: 1-line block ×8, first 2 shown]
	v_mul_f64 v[45:46], v[78:79], s[22:23]
	v_mul_f64 v[55:56], v[88:89], s[12:13]
	;; [unrolled: 1-line block ×3, first 2 shown]
	v_add_f64 v[36:37], v[36:37], v[106:107]
	v_mul_f64 v[49:50], v[80:81], s[14:15]
	v_mul_f64 v[53:54], v[84:85], s[8:9]
	v_fma_f64 v[57:58], v[98:99], s[12:13], v[90:91]
	v_mul_f64 v[76:77], v[32:33], s[6:7]
	v_mul_f64 v[82:83], v[34:35], s[14:15]
	;; [unrolled: 1-line block ×3, first 2 shown]
	v_add_f64 v[6:7], v[14:15], v[6:7]
	v_add_f64 v[4:5], v[12:13], v[4:5]
	;; [unrolled: 1-line block ×4, first 2 shown]
	v_fma_f64 v[16:17], v[30:31], s[14:15], v[16:17]
	v_fma_f64 v[12:13], v[28:29], s[14:15], v[18:19]
	;; [unrolled: 1-line block ×4, first 2 shown]
	v_fma_f64 v[30:31], v[47:48], s[12:13], -v[45:46]
	v_fma_f64 v[45:46], v[26:27], s[22:23], v[55:56]
	v_fma_f64 v[55:56], v[86:87], s[14:15], v[38:39]
	;; [unrolled: 1-line block ×3, first 2 shown]
	v_fma_f64 v[34:35], v[34:35], s[8:9], -v[49:50]
	v_fma_f64 v[32:33], v[32:33], s[14:15], v[53:54]
	v_fma_f64 v[47:48], v[86:87], s[14:15], v[57:58]
	v_fma_f64 v[53:54], v[36:37], s[14:15], v[24:25]
	v_fma_f64 v[57:58], v[84:85], s[14:15], v[76:77]
	v_fma_f64 v[49:50], v[36:37], s[14:15], v[74:75]
	v_fma_f64 v[74:75], v[80:81], s[6:7], -v[82:83]
	v_fma_f64 v[76:77], v[78:79], s[10:11], -v[88:89]
	v_add_f64 v[2:3], v[6:7], -v[10:11]
	v_add_f64 v[0:1], v[4:5], -v[8:9]
	v_add_f64 v[6:7], v[6:7], v[10:11]
	v_add_f64 v[4:5], v[4:5], v[8:9]
	v_add_f64 v[10:11], v[12:13], -v[30:31]
	v_add_f64 v[38:39], v[28:29], v[45:46]
	v_add_f64 v[26:27], v[12:13], v[30:31]
	;; [unrolled: 1-line block ×3, first 2 shown]
	v_add_f64 v[14:15], v[16:17], -v[34:35]
	v_add_f64 v[18:19], v[20:21], -v[32:33]
	v_add_f64 v[30:31], v[16:17], v[34:35]
	v_add_f64 v[34:35], v[20:21], v[32:33]
	;; [unrolled: 1-line block ×3, first 2 shown]
	v_add_f64 v[22:23], v[28:29], -v[45:46]
	v_add_f64 v[28:29], v[49:50], v[74:75]
	v_add_f64 v[24:25], v[47:48], v[76:77]
	v_add_f64 v[20:21], v[55:56], -v[51:52]
	v_add_f64 v[16:17], v[53:54], -v[57:58]
	;; [unrolled: 1-line block ×4, first 2 shown]
	v_mul_i32_i24_e32 v45, 0x90, v40
	v_add3_u32 v43, v44, v45, v43
	ds_write_b128 v43, v[4:7]
	ds_write_b128 v43, v[0:3] offset:80
	ds_write_b128 v43, v[36:39] offset:16
	;; [unrolled: 1-line block ×9, first 2 shown]
.LBB0_18:
	s_or_b32 exec_lo, exec_lo, s5
	v_mul_i32_i24_e32 v0, 7, v40
	v_mov_b32_e32 v1, 0
	s_waitcnt lgkmcnt(0)
	s_barrier
	buffer_gl0_inv
	v_add_nc_u32_e32 v32, s4, v42
	v_lshlrev_b64 v[0:1], 4, v[0:1]
	s_add_i32 s6, 0, 0x5000
	s_mov_b32 s4, 0x667f3bcd
	s_mov_b32 s5, 0xbfe6a09e
	v_mul_lo_u32 v74, v32, v40
	v_mul_lo_u32 v118, v32, 10
	v_add_co_u32 v8, vcc_lo, s18, v0
	v_add_co_ci_u32_e32 v9, vcc_lo, s19, v1, vcc_lo
	s_mov_b32 s7, 0x3fe6a09e
	s_clause 0x6
	global_load_dwordx4 v[12:15], v[8:9], off
	global_load_dwordx4 v[4:7], v[8:9], off offset:16
	global_load_dwordx4 v[0:3], v[8:9], off offset:48
	;; [unrolled: 1-line block ×6, first 2 shown]
	ds_read_b128 v[28:31], v41
	ds_read_b128 v[56:59], v73 offset:160
	v_add_nc_u32_e32 v76, v74, v118
	ds_read_b128 v[52:55], v73 offset:320
	ds_read_b128 v[32:35], v73 offset:480
	;; [unrolled: 1-line block ×6, first 2 shown]
	v_lshrrev_b32_e32 v75, 2, v74
	v_and_b32_e32 v77, 63, v74
	v_lshrrev_b32_e32 v74, 8, v74
	v_add_nc_u32_e32 v80, v76, v118
	v_lshrrev_b32_e32 v78, 2, v76
	v_and_b32_e32 v79, 63, v76
	v_lshrrev_b32_e32 v76, 8, v76
	v_and_b32_e32 v75, 0x3f0, v75
	v_add_nc_u32_e32 v86, v80, v118
	v_lshrrev_b32_e32 v84, 2, v80
	v_lshrrev_b32_e32 v89, 8, v80
	v_and_b32_e32 v82, 0x3f0, v78
	v_and_b32_e32 v85, 63, v80
	v_add_nc_u32_e32 v94, v86, v118
	v_lshrrev_b32_e32 v93, 2, v86
	v_lshrrev_b32_e32 v95, 8, v86
	v_and_b32_e32 v92, 63, v86
	v_and_b32_e32 v74, 0x3f0, v74
	v_lshrrev_b32_e32 v109, 2, v94
	v_add_nc_u32_e32 v110, v94, v118
	v_and_b32_e32 v107, 0x3f0, v93
	v_and_b32_e32 v88, 0x3f0, v76
	;; [unrolled: 1-line block ×5, first 2 shown]
	v_lshrrev_b32_e32 v119, 2, v110
	v_add_nc_u32_e32 v132, v110, v118
	v_and_b32_e32 v99, 0x3f0, v89
	v_add_nc_u32_e32 v136, s6, v116
	v_lshl_add_u32 v137, v117, 4, 0
	v_and_b32_e32 v138, 0x3f0, v119
	v_add_nc_u32_e32 v141, v132, v118
	v_and_b32_e32 v111, 0x3f0, v95
	v_lshrrev_b32_e32 v112, 8, v94
	v_lshl_add_u32 v77, v77, 4, 0
	v_lshl_add_u32 v83, v79, 4, 0
	v_add_nc_u32_e32 v90, s6, v82
	v_lshl_add_u32 v98, v85, 4, 0
	v_lshl_add_u32 v106, v92, 4, 0
	v_and_b32_e32 v108, 63, v94
	v_add_nc_u32_e32 v130, s6, v107
	v_lshrrev_b32_e32 v134, 8, v110
	v_add_nc_u32_e32 v81, s6, v75
	v_add_nc_u32_e32 v87, s6, v74
	;; [unrolled: 1-line block ×6, first 2 shown]
	v_and_b32_e32 v135, 0x3f0, v112
	ds_read_b128 v[74:77], v77 offset:20480
	ds_read_b128 v[78:81], v81 offset:1024
	;; [unrolled: 1-line block ×8, first 2 shown]
	v_lshl_add_u32 v131, v108, 4, 0
	ds_read_b128 v[106:109], v106 offset:20480
	ds_read_b128 v[110:113], v113 offset:2048
	v_and_b32_e32 v134, 0x3f0, v134
	v_lshrrev_b32_e32 v139, 2, v132
	v_and_b32_e32 v140, 63, v132
	v_add_nc_u32_e32 v138, s6, v138
	s_waitcnt vmcnt(6) lgkmcnt(16)
	v_mul_f64 v[114:115], v[58:59], v[14:15]
	v_mul_f64 v[14:15], v[56:57], v[14:15]
	s_waitcnt vmcnt(5) lgkmcnt(15)
	v_mul_f64 v[116:117], v[54:55], v[6:7]
	v_mul_f64 v[6:7], v[52:53], v[6:7]
	s_waitcnt vmcnt(4) lgkmcnt(13)
	v_mul_f64 v[118:119], v[46:47], v[2:3]
	s_waitcnt vmcnt(3) lgkmcnt(11)
	v_mul_f64 v[120:121], v[48:49], v[26:27]
	v_mul_f64 v[2:3], v[44:45], v[2:3]
	s_waitcnt vmcnt(2)
	v_mul_f64 v[122:123], v[34:35], v[22:23]
	v_mul_f64 v[22:23], v[32:33], v[22:23]
	;; [unrolled: 1-line block ×3, first 2 shown]
	s_waitcnt vmcnt(1)
	v_mul_f64 v[124:125], v[38:39], v[18:19]
	v_mul_f64 v[18:19], v[36:37], v[18:19]
	s_waitcnt vmcnt(0) lgkmcnt(10)
	v_mul_f64 v[126:127], v[40:41], v[10:11]
	v_fma_f64 v[114:115], v[56:57], v[12:13], -v[114:115]
	v_fma_f64 v[128:129], v[58:59], v[12:13], v[14:15]
	v_mul_f64 v[14:15], v[42:43], v[10:11]
	v_fma_f64 v[52:53], v[52:53], v[4:5], -v[116:117]
	v_fma_f64 v[54:55], v[54:55], v[4:5], v[6:7]
	v_fma_f64 v[44:45], v[44:45], v[0:1], -v[118:119]
	v_fma_f64 v[50:51], v[50:51], v[24:25], v[120:121]
	v_fma_f64 v[46:47], v[46:47], v[0:1], v[2:3]
	;; [unrolled: 1-line block ×3, first 2 shown]
	v_fma_f64 v[24:25], v[48:49], v[24:25], -v[26:27]
	v_fma_f64 v[26:27], v[32:33], v[20:21], -v[122:123]
	;; [unrolled: 1-line block ×3, first 2 shown]
	v_fma_f64 v[32:33], v[38:39], v[16:17], v[18:19]
	v_fma_f64 v[34:35], v[42:43], v[8:9], v[126:127]
	ds_read_b128 v[10:13], v130 offset:1024
	ds_read_b128 v[56:59], v133 offset:2048
	v_lshrrev_b32_e32 v130, 8, v132
	v_add_nc_u32_e32 v132, s6, v135
	ds_read_b128 v[0:3], v131 offset:20480
	ds_read_b128 v[4:7], v136 offset:1024
	v_and_b32_e32 v36, 0x3f0, v139
	v_lshrrev_b32_e32 v39, 2, v141
	v_and_b32_e32 v42, 0x3f0, v130
	v_and_b32_e32 v38, 63, v141
	v_lshl_add_u32 v37, v140, 4, 0
	v_add_nc_u32_e32 v43, s6, v36
	v_fma_f64 v[8:9], v[40:41], v[8:9], -v[14:15]
	v_add_nc_u32_e32 v41, s6, v134
	ds_read_b128 v[14:17], v137 offset:20480
	ds_read_b128 v[18:21], v132 offset:2048
	v_add_f64 v[122:123], v[28:29], -v[44:45]
	v_add_f64 v[124:125], v[54:55], -v[50:51]
	;; [unrolled: 1-line block ×3, first 2 shown]
	v_lshrrev_b32_e32 v40, 8, v141
	v_add_f64 v[130:131], v[52:53], -v[24:25]
	v_and_b32_e32 v36, 0x3f0, v39
	v_add_f64 v[132:133], v[114:115], -v[22:23]
	v_add_f64 v[134:135], v[128:129], -v[32:33]
	;; [unrolled: 1-line block ×3, first 2 shown]
	v_lshl_add_u32 v48, v38, 4, 0
	v_and_b32_e32 v44, 0x3f0, v40
	v_add_nc_u32_e32 v45, s6, v36
	s_waitcnt lgkmcnt(14)
	v_mul_f64 v[116:117], v[76:77], v[80:81]
	v_mul_f64 v[80:81], v[74:75], v[80:81]
	s_waitcnt lgkmcnt(11)
	v_mul_f64 v[120:121], v[84:85], v[92:93]
	v_mul_f64 v[92:93], v[82:83], v[92:93]
	ds_read_b128 v[22:25], v138 offset:1024
	ds_read_b128 v[32:35], v41 offset:2048
	v_add_nc_u32_e32 v148, s6, v42
	ds_read_b128 v[36:39], v37 offset:20480
	ds_read_b128 v[40:43], v43 offset:1024
	v_add_f64 v[8:9], v[26:27], -v[8:9]
	v_add_nc_u32_e32 v150, s6, v44
	ds_read_b128 v[44:47], v45 offset:1024
	ds_read_b128 v[48:51], v48 offset:20480
	v_add_f64 v[140:141], v[122:123], -v[124:125]
	v_fma_f64 v[142:143], v[28:29], 2.0, -v[122:123]
	v_fma_f64 v[30:31], v[30:31], 2.0, -v[126:127]
	v_add_f64 v[144:145], v[126:127], v[130:131]
	v_fma_f64 v[130:131], v[52:53], 2.0, -v[130:131]
	v_fma_f64 v[124:125], v[54:55], 2.0, -v[124:125]
	;; [unrolled: 1-line block ×5, first 2 shown]
	v_add_f64 v[136:137], v[132:133], -v[136:137]
	s_waitcnt lgkmcnt(14)
	v_mul_f64 v[138:139], v[100:101], v[104:105]
	v_fma_f64 v[74:75], v[74:75], v[78:79], -v[116:117]
	v_fma_f64 v[76:77], v[76:77], v[78:79], v[80:81]
	v_fma_f64 v[78:79], v[82:83], v[90:91], -v[120:121]
	v_fma_f64 v[82:83], v[84:85], v[90:91], v[92:93]
	s_waitcnt lgkmcnt(2)
	v_mul_f64 v[80:81], v[38:39], v[42:43]
	ds_read_b128 v[52:55], v150 offset:2048
	v_mul_f64 v[90:91], v[2:3], v[6:7]
	v_fma_f64 v[146:147], v[26:27], 2.0, -v[8:9]
	v_add_f64 v[8:9], v[134:135], v[8:9]
	s_waitcnt lgkmcnt(1)
	v_mul_f64 v[84:85], v[50:51], v[46:47]
	ds_read_b128 v[26:29], v148 offset:2048
	v_mul_f64 v[148:149], v[108:109], v[12:13]
	v_mul_f64 v[6:7], v[0:1], v[6:7]
	;; [unrolled: 1-line block ×4, first 2 shown]
	v_fma_f64 v[116:117], v[122:123], 2.0, -v[140:141]
	v_fma_f64 v[120:121], v[126:127], 2.0, -v[144:145]
	v_add_f64 v[122:123], v[142:143], -v[130:131]
	v_add_f64 v[124:125], v[30:31], -v[124:125]
	;; [unrolled: 1-line block ×3, first 2 shown]
	v_fma_f64 v[132:133], v[132:133], 2.0, -v[136:137]
	v_mul_f64 v[42:43], v[36:37], v[42:43]
	v_mul_f64 v[24:25], v[14:15], v[24:25]
	s_mov_b32 s6, s4
	v_mul_f64 v[46:47], v[48:49], v[46:47]
	v_fma_f64 v[98:99], v[98:99], v[102:103], -v[138:139]
	v_fma_f64 v[36:37], v[36:37], v[40:41], -v[80:81]
	v_mul_f64 v[12:13], v[106:107], v[12:13]
	v_fma_f64 v[0:1], v[0:1], v[4:5], -v[90:91]
	v_add_f64 v[126:127], v[114:115], -v[146:147]
	v_fma_f64 v[130:131], v[134:135], 2.0, -v[8:9]
	v_fma_f64 v[48:49], v[48:49], v[44:45], -v[84:85]
	s_waitcnt lgkmcnt(0)
	v_fma_f64 v[80:81], v[106:107], v[10:11], -v[148:149]
	v_fma_f64 v[2:3], v[2:3], v[4:5], v[6:7]
	v_fma_f64 v[4:5], v[8:9], s[6:7], v[144:145]
	;; [unrolled: 1-line block ×4, first 2 shown]
	v_fma_f64 v[14:15], v[14:15], v[22:23], -v[92:93]
	v_fma_f64 v[84:85], v[142:143], 2.0, -v[122:123]
	v_fma_f64 v[30:31], v[30:31], 2.0, -v[124:125]
	;; [unrolled: 1-line block ×3, first 2 shown]
	v_fma_f64 v[104:105], v[132:133], s[4:5], v[116:117]
	v_fma_f64 v[38:39], v[38:39], v[40:41], v[42:43]
	;; [unrolled: 1-line block ×3, first 2 shown]
	v_mul_f64 v[22:23], v[82:83], v[96:97]
	v_fma_f64 v[40:41], v[50:51], v[44:45], v[46:47]
	v_mul_f64 v[24:25], v[78:79], v[96:97]
	v_mul_f64 v[42:43], v[36:37], v[28:29]
	;; [unrolled: 1-line block ×3, first 2 shown]
	v_add_f64 v[106:107], v[122:123], -v[118:119]
	v_fma_f64 v[92:93], v[114:115], 2.0, -v[126:127]
	v_fma_f64 v[102:103], v[130:131], s[4:5], v[120:121]
	v_mul_f64 v[46:47], v[48:49], v[54:55]
	v_add_f64 v[96:97], v[124:125], v[126:127]
	v_fma_f64 v[10:11], v[108:109], v[10:11], v[12:13]
	v_mul_f64 v[12:13], v[76:77], v[88:89]
	v_mul_f64 v[88:89], v[74:75], v[88:89]
	;; [unrolled: 1-line block ×3, first 2 shown]
	v_fma_f64 v[108:109], v[136:137], s[6:7], v[4:5]
	v_fma_f64 v[4:5], v[8:9], s[4:5], v[6:7]
	v_mul_f64 v[6:7], v[0:1], v[20:21]
	v_mul_f64 v[8:9], v[100:101], v[112:113]
	;; [unrolled: 1-line block ×3, first 2 shown]
	v_add_f64 v[90:91], v[30:31], -v[90:91]
	v_fma_f64 v[104:105], v[130:131], s[4:5], v[104:105]
	v_mul_f64 v[20:21], v[2:3], v[20:21]
	v_mul_f64 v[28:29], v[38:39], v[28:29]
	v_mul_f64 v[34:35], v[16:17], v[34:35]
	v_mul_f64 v[54:55], v[40:41], v[54:55]
	v_fma_f64 v[38:39], v[26:27], v[38:39], v[42:43]
	v_fma_f64 v[42:43], v[110:111], v[100:101], v[44:45]
	v_fma_f64 v[78:79], v[94:95], v[78:79], -v[22:23]
	v_add_f64 v[92:93], v[84:85], -v[92:93]
	v_fma_f64 v[102:103], v[132:133], s[6:7], v[102:103]
	v_fma_f64 v[40:41], v[52:53], v[40:41], v[46:47]
	v_fma_f64 v[44:45], v[124:125], 2.0, -v[96:97]
	v_fma_f64 v[46:47], v[122:123], 2.0, -v[106:107]
	v_mul_f64 v[58:59], v[10:11], v[58:59]
	v_fma_f64 v[74:75], v[86:87], v[74:75], -v[12:13]
	v_fma_f64 v[12:13], v[86:87], v[76:77], v[88:89]
	v_fma_f64 v[10:11], v[56:57], v[10:11], v[50:51]
	v_fma_f64 v[50:51], v[144:145], 2.0, -v[108:109]
	v_fma_f64 v[76:77], v[140:141], 2.0, -v[4:5]
	v_fma_f64 v[2:3], v[18:19], v[2:3], v[6:7]
	v_fma_f64 v[6:7], v[32:33], v[16:17], v[112:113]
	;; [unrolled: 1-line block ×3, first 2 shown]
	v_fma_f64 v[30:31], v[30:31], 2.0, -v[90:91]
	v_fma_f64 v[22:23], v[110:111], v[98:99], -v[8:9]
	v_fma_f64 v[18:19], v[18:19], v[0:1], -v[20:21]
	;; [unrolled: 1-line block ×4, first 2 shown]
	v_mul_f64 v[0:1], v[96:97], v[38:39]
	v_mul_f64 v[20:21], v[106:107], v[38:39]
	v_fma_f64 v[14:15], v[52:53], v[48:49], -v[54:55]
	v_fma_f64 v[24:25], v[84:85], 2.0, -v[92:93]
	v_fma_f64 v[82:83], v[120:121], 2.0, -v[102:103]
	;; [unrolled: 1-line block ×3, first 2 shown]
	v_mul_f64 v[26:27], v[108:109], v[40:41]
	v_mul_f64 v[28:29], v[4:5], v[40:41]
	;; [unrolled: 1-line block ×4, first 2 shown]
	v_fma_f64 v[56:57], v[56:57], v[80:81], -v[58:59]
	s_barrier
	v_mul_f64 v[38:39], v[50:51], v[10:11]
	v_mul_f64 v[40:41], v[76:77], v[10:11]
	;; [unrolled: 1-line block ×7, first 2 shown]
	buffer_gl0_inv
	v_fma_f64 v[0:1], v[106:107], v[8:9], -v[0:1]
	v_fma_f64 v[2:3], v[96:97], v[8:9], v[20:21]
	v_mul_f64 v[80:81], v[24:25], v[12:13]
	v_mul_f64 v[86:87], v[82:83], v[16:17]
	;; [unrolled: 1-line block ×3, first 2 shown]
	v_fma_f64 v[4:5], v[4:5], v[14:15], -v[26:27]
	v_fma_f64 v[6:7], v[108:109], v[14:15], v[28:29]
	v_fma_f64 v[8:9], v[46:47], v[22:23], -v[34:35]
	v_fma_f64 v[10:11], v[44:45], v[22:23], v[36:37]
	;; [unrolled: 2-line block ×7, first 2 shown]
	ds_write_b128 v73, v[0:3] offset:960
	ds_write_b128 v73, v[4:7] offset:1120
	;; [unrolled: 1-line block ×6, first 2 shown]
	ds_write_b128 v73, v[24:27]
	ds_write_b128 v73, v[28:31] offset:160
	s_waitcnt lgkmcnt(0)
	s_barrier
	buffer_gl0_inv
	s_and_saveexec_b32 s4, s20
	s_cbranch_execz .LBB0_20
; %bb.19:
	v_mad_u64_u32 v[4:5], null, s2, v70, 0
	v_mad_u64_u32 v[6:7], null, s0, v67, 0
	v_add3_u32 v31, 0, v71, v72
	v_mad_u64_u32 v[8:9], null, s0, v68, 0
	v_mad_u64_u32 v[10:11], null, s0, v69, 0
	v_mov_b32_e32 v0, v5
	v_mov_b32_e32 v1, v7
	v_add_co_u32 v15, vcc_lo, s16, v60
	v_add_co_ci_u32_e32 v16, vcc_lo, s17, v61, vcc_lo
	v_mad_u64_u32 v[2:3], null, s3, v70, v[0:1]
	v_mad_u64_u32 v[20:21], null, s0, v64, 0
	;; [unrolled: 1-line block ×4, first 2 shown]
	v_mov_b32_e32 v5, v2
	ds_read_b128 v[0:3], v31
	v_lshlrev_b64 v[4:5], 4, v[4:5]
	v_mov_b32_e32 v7, v12
	v_mad_u64_u32 v[12:13], null, s1, v68, v[9:10]
	v_lshlrev_b64 v[6:7], 4, v[6:7]
	v_add_co_u32 v32, vcc_lo, v15, v4
	v_add_co_ci_u32_e32 v33, vcc_lo, v16, v5, vcc_lo
	v_mad_u64_u32 v[13:14], null, s1, v69, v[11:12]
	v_add_co_u32 v14, vcc_lo, v32, v6
	v_add_co_ci_u32_e32 v15, vcc_lo, v33, v7, vcc_lo
	ds_read_b128 v[4:7], v31 offset:160
	v_mov_b32_e32 v9, v12
	v_mov_b32_e32 v11, v13
	v_mad_u64_u32 v[12:13], null, s0, v66, 0
	s_waitcnt lgkmcnt(1)
	global_store_dwordx4 v[14:15], v[0:3], off
	v_mad_u64_u32 v[14:15], null, s0, v65, 0
	ds_read_b128 v[0:3], v31 offset:320
	v_lshlrev_b64 v[8:9], 4, v[8:9]
	v_lshlrev_b64 v[10:11], 4, v[10:11]
	v_mad_u64_u32 v[16:17], null, s1, v66, v[13:14]
	v_mov_b32_e32 v13, v15
	v_add_co_u32 v8, vcc_lo, v32, v8
	v_add_co_ci_u32_e32 v9, vcc_lo, v33, v9, vcc_lo
	v_add_co_u32 v10, vcc_lo, v32, v10
	v_mad_u64_u32 v[17:18], null, s1, v65, v[13:14]
	v_add_co_ci_u32_e32 v11, vcc_lo, v33, v11, vcc_lo
	v_mov_b32_e32 v13, v16
	v_mad_u64_u32 v[18:19], null, s0, v62, 0
	s_waitcnt lgkmcnt(1)
	global_store_dwordx4 v[8:9], v[4:7], off
	ds_read_b128 v[4:7], v31 offset:480
	s_waitcnt lgkmcnt(1)
	global_store_dwordx4 v[10:11], v[0:3], off
	v_lshlrev_b64 v[0:1], 4, v[12:13]
	v_mov_b32_e32 v15, v17
	v_mov_b32_e32 v2, v19
	v_add_co_u32 v24, vcc_lo, v32, v0
	v_add_co_ci_u32_e32 v25, vcc_lo, v33, v1, vcc_lo
	v_mad_u64_u32 v[1:2], null, s1, v62, v[2:3]
	v_mov_b32_e32 v0, v21
	v_lshlrev_b64 v[8:9], 4, v[14:15]
	v_mad_u64_u32 v[2:3], null, s1, v64, v[0:1]
	v_mov_b32_e32 v0, v23
	v_mov_b32_e32 v19, v1
	v_add_co_u32 v26, vcc_lo, v32, v8
	v_add_co_ci_u32_e32 v27, vcc_lo, v33, v9, vcc_lo
	v_mad_u64_u32 v[28:29], null, s1, v63, v[0:1]
	v_mov_b32_e32 v21, v2
	ds_read_b128 v[0:3], v31 offset:640
	ds_read_b128 v[8:11], v31 offset:800
	v_lshlrev_b64 v[29:30], 4, v[18:19]
	ds_read_b128 v[12:15], v31 offset:960
	ds_read_b128 v[16:19], v31 offset:1120
	v_lshlrev_b64 v[20:21], 4, v[20:21]
	v_mov_b32_e32 v23, v28
	v_add_co_u32 v28, vcc_lo, v32, v29
	v_add_co_ci_u32_e32 v29, vcc_lo, v33, v30, vcc_lo
	v_lshlrev_b64 v[22:23], 4, v[22:23]
	v_add_co_u32 v20, vcc_lo, v32, v20
	v_add_co_ci_u32_e32 v21, vcc_lo, v33, v21, vcc_lo
	v_add_co_u32 v22, vcc_lo, v32, v22
	v_add_co_ci_u32_e32 v23, vcc_lo, v33, v23, vcc_lo
	s_waitcnt lgkmcnt(4)
	global_store_dwordx4 v[24:25], v[4:7], off
	s_waitcnt lgkmcnt(3)
	global_store_dwordx4 v[26:27], v[0:3], off
	;; [unrolled: 2-line block ×5, first 2 shown]
.LBB0_20:
	s_endpgm
	.section	.rodata,"a",@progbits
	.p2align	6, 0x0
	.amdhsa_kernel fft_rtc_fwd_len80_factors_10_8_wgs_160_tpt_10_dp_ip_CI_sbcc_twdbase6_3step
		.amdhsa_group_segment_fixed_size 0
		.amdhsa_private_segment_fixed_size 0
		.amdhsa_kernarg_size 96
		.amdhsa_user_sgpr_count 6
		.amdhsa_user_sgpr_private_segment_buffer 1
		.amdhsa_user_sgpr_dispatch_ptr 0
		.amdhsa_user_sgpr_queue_ptr 0
		.amdhsa_user_sgpr_kernarg_segment_ptr 1
		.amdhsa_user_sgpr_dispatch_id 0
		.amdhsa_user_sgpr_flat_scratch_init 0
		.amdhsa_user_sgpr_private_segment_size 0
		.amdhsa_wavefront_size32 1
		.amdhsa_uses_dynamic_stack 0
		.amdhsa_system_sgpr_private_segment_wavefront_offset 0
		.amdhsa_system_sgpr_workgroup_id_x 1
		.amdhsa_system_sgpr_workgroup_id_y 0
		.amdhsa_system_sgpr_workgroup_id_z 0
		.amdhsa_system_sgpr_workgroup_info 0
		.amdhsa_system_vgpr_workitem_id 0
		.amdhsa_next_free_vgpr 151
		.amdhsa_next_free_sgpr 42
		.amdhsa_reserve_vcc 1
		.amdhsa_reserve_flat_scratch 0
		.amdhsa_float_round_mode_32 0
		.amdhsa_float_round_mode_16_64 0
		.amdhsa_float_denorm_mode_32 3
		.amdhsa_float_denorm_mode_16_64 3
		.amdhsa_dx10_clamp 1
		.amdhsa_ieee_mode 1
		.amdhsa_fp16_overflow 0
		.amdhsa_workgroup_processor_mode 1
		.amdhsa_memory_ordered 1
		.amdhsa_forward_progress 0
		.amdhsa_shared_vgpr_count 0
		.amdhsa_exception_fp_ieee_invalid_op 0
		.amdhsa_exception_fp_denorm_src 0
		.amdhsa_exception_fp_ieee_div_zero 0
		.amdhsa_exception_fp_ieee_overflow 0
		.amdhsa_exception_fp_ieee_underflow 0
		.amdhsa_exception_fp_ieee_inexact 0
		.amdhsa_exception_int_div_zero 0
	.end_amdhsa_kernel
	.text
.Lfunc_end0:
	.size	fft_rtc_fwd_len80_factors_10_8_wgs_160_tpt_10_dp_ip_CI_sbcc_twdbase6_3step, .Lfunc_end0-fft_rtc_fwd_len80_factors_10_8_wgs_160_tpt_10_dp_ip_CI_sbcc_twdbase6_3step
                                        ; -- End function
	.section	.AMDGPU.csdata,"",@progbits
; Kernel info:
; codeLenInByte = 6524
; NumSgprs: 44
; NumVgprs: 151
; ScratchSize: 0
; MemoryBound: 0
; FloatMode: 240
; IeeeMode: 1
; LDSByteSize: 0 bytes/workgroup (compile time only)
; SGPRBlocks: 5
; VGPRBlocks: 18
; NumSGPRsForWavesPerEU: 44
; NumVGPRsForWavesPerEU: 151
; Occupancy: 6
; WaveLimiterHint : 1
; COMPUTE_PGM_RSRC2:SCRATCH_EN: 0
; COMPUTE_PGM_RSRC2:USER_SGPR: 6
; COMPUTE_PGM_RSRC2:TRAP_HANDLER: 0
; COMPUTE_PGM_RSRC2:TGID_X_EN: 1
; COMPUTE_PGM_RSRC2:TGID_Y_EN: 0
; COMPUTE_PGM_RSRC2:TGID_Z_EN: 0
; COMPUTE_PGM_RSRC2:TIDIG_COMP_CNT: 0
	.text
	.p2alignl 6, 3214868480
	.fill 48, 4, 3214868480
	.type	__hip_cuid_c840bac7aff1710,@object ; @__hip_cuid_c840bac7aff1710
	.section	.bss,"aw",@nobits
	.globl	__hip_cuid_c840bac7aff1710
__hip_cuid_c840bac7aff1710:
	.byte	0                               ; 0x0
	.size	__hip_cuid_c840bac7aff1710, 1

	.ident	"AMD clang version 19.0.0git (https://github.com/RadeonOpenCompute/llvm-project roc-6.4.0 25133 c7fe45cf4b819c5991fe208aaa96edf142730f1d)"
	.section	".note.GNU-stack","",@progbits
	.addrsig
	.addrsig_sym __hip_cuid_c840bac7aff1710
	.amdgpu_metadata
---
amdhsa.kernels:
  - .args:
      - .actual_access:  read_only
        .address_space:  global
        .offset:         0
        .size:           8
        .value_kind:     global_buffer
      - .address_space:  global
        .offset:         8
        .size:           8
        .value_kind:     global_buffer
      - .offset:         16
        .size:           8
        .value_kind:     by_value
      - .actual_access:  read_only
        .address_space:  global
        .offset:         24
        .size:           8
        .value_kind:     global_buffer
      - .actual_access:  read_only
        .address_space:  global
        .offset:         32
        .size:           8
        .value_kind:     global_buffer
      - .offset:         40
        .size:           8
        .value_kind:     by_value
      - .actual_access:  read_only
        .address_space:  global
        .offset:         48
        .size:           8
        .value_kind:     global_buffer
      - .actual_access:  read_only
        .address_space:  global
        .offset:         56
        .size:           8
        .value_kind:     global_buffer
      - .offset:         64
        .size:           4
        .value_kind:     by_value
      - .actual_access:  read_only
        .address_space:  global
        .offset:         72
        .size:           8
        .value_kind:     global_buffer
      - .actual_access:  read_only
        .address_space:  global
        .offset:         80
        .size:           8
        .value_kind:     global_buffer
      - .address_space:  global
        .offset:         88
        .size:           8
        .value_kind:     global_buffer
    .group_segment_fixed_size: 0
    .kernarg_segment_align: 8
    .kernarg_segment_size: 96
    .language:       OpenCL C
    .language_version:
      - 2
      - 0
    .max_flat_workgroup_size: 160
    .name:           fft_rtc_fwd_len80_factors_10_8_wgs_160_tpt_10_dp_ip_CI_sbcc_twdbase6_3step
    .private_segment_fixed_size: 0
    .sgpr_count:     44
    .sgpr_spill_count: 0
    .symbol:         fft_rtc_fwd_len80_factors_10_8_wgs_160_tpt_10_dp_ip_CI_sbcc_twdbase6_3step.kd
    .uniform_work_group_size: 1
    .uses_dynamic_stack: false
    .vgpr_count:     151
    .vgpr_spill_count: 0
    .wavefront_size: 32
    .workgroup_processor_mode: 1
amdhsa.target:   amdgcn-amd-amdhsa--gfx1030
amdhsa.version:
  - 1
  - 2
...

	.end_amdgpu_metadata
